;; amdgpu-corpus repo=ROCm/rocFFT kind=compiled arch=gfx1030 opt=O3
	.text
	.amdgcn_target "amdgcn-amd-amdhsa--gfx1030"
	.amdhsa_code_object_version 6
	.protected	bluestein_single_fwd_len250_dim1_sp_op_CI_CI ; -- Begin function bluestein_single_fwd_len250_dim1_sp_op_CI_CI
	.globl	bluestein_single_fwd_len250_dim1_sp_op_CI_CI
	.p2align	8
	.type	bluestein_single_fwd_len250_dim1_sp_op_CI_CI,@function
bluestein_single_fwd_len250_dim1_sp_op_CI_CI: ; @bluestein_single_fwd_len250_dim1_sp_op_CI_CI
; %bb.0:
	s_load_dwordx4 s[12:15], s[4:5], 0x28
	v_mul_u32_u24_e32 v1, 0xa3e, v0
	s_mov_b32 s0, exec_lo
	v_lshrrev_b32_e32 v1, 16, v1
	v_mad_u64_u32 v[68:69], null, s6, 5, v[1:2]
	v_mov_b32_e32 v69, 0
	s_waitcnt lgkmcnt(0)
	v_cmpx_gt_u64_e64 s[12:13], v[68:69]
	s_cbranch_execz .LBB0_2
; %bb.1:
	s_clause 0x1
	s_load_dwordx4 s[0:3], s[4:5], 0x18
	s_load_dwordx4 s[8:11], s[4:5], 0x0
	v_mul_lo_u16 v1, v1, 25
	s_load_dwordx2 s[4:5], s[4:5], 0x38
	v_sub_nc_u16 v20, v0, v1
	v_and_b32_e32 v73, 0xffff, v20
	v_lshlrev_b32_e32 v32, 3, v73
	s_waitcnt lgkmcnt(0)
	s_load_dwordx4 s[16:19], s[0:1], 0x0
	s_add_u32 s6, s8, 0x7d0
	s_addc_u32 s7, s9, 0
	s_clause 0x7
	global_load_dwordx2 v[58:59], v32, s[8:9]
	global_load_dwordx2 v[54:55], v32, s[8:9] offset:200
	global_load_dwordx2 v[50:51], v32, s[8:9] offset:400
	;; [unrolled: 1-line block ×7, first 2 shown]
	s_waitcnt lgkmcnt(0)
	v_mad_u64_u32 v[0:1], null, s18, v68, 0
	v_mad_u64_u32 v[2:3], null, s16, v73, 0
	s_mul_i32 s0, s17, 0xc8
	s_mul_hi_u32 s1, s16, 0xc8
	s_mul_i32 s12, s16, 0xc8
	s_add_i32 s1, s1, s0
	v_mad_u64_u32 v[4:5], null, s19, v68, v[1:2]
	v_mad_u64_u32 v[5:6], null, s17, v73, v[3:4]
	v_mov_b32_e32 v1, v4
	v_lshlrev_b64 v[0:1], 3, v[0:1]
	v_mov_b32_e32 v3, v5
	v_add_co_u32 v0, vcc_lo, s14, v0
	v_lshlrev_b64 v[2:3], 3, v[2:3]
	v_add_co_ci_u32_e32 v1, vcc_lo, s15, v1, vcc_lo
	v_add_co_u32 v0, vcc_lo, v0, v2
	v_add_co_ci_u32_e32 v1, vcc_lo, v1, v3, vcc_lo
	v_add_co_u32 v2, vcc_lo, v0, s12
	v_add_co_ci_u32_e32 v3, vcc_lo, s1, v1, vcc_lo
	global_load_dwordx2 v[8:9], v[0:1], off
	v_add_co_u32 v4, vcc_lo, v2, s12
	v_add_co_ci_u32_e32 v5, vcc_lo, s1, v3, vcc_lo
	v_add_co_u32 v6, vcc_lo, v4, s12
	v_add_co_ci_u32_e32 v7, vcc_lo, s1, v5, vcc_lo
	s_clause 0x1
	global_load_dwordx2 v[14:15], v[2:3], off
	global_load_dwordx2 v[4:5], v[4:5], off
	v_add_co_u32 v0, vcc_lo, v6, s12
	v_add_co_ci_u32_e32 v1, vcc_lo, s1, v7, vcc_lo
	s_clause 0x1
	global_load_dwordx2 v[10:11], v[6:7], off
	global_load_dwordx2 v[6:7], v[0:1], off
	v_add_co_u32 v2, vcc_lo, v0, s12
	v_add_co_ci_u32_e32 v3, vcc_lo, s1, v1, vcc_lo
	v_add_co_u32 v12, vcc_lo, v2, s12
	v_add_co_ci_u32_e32 v13, vcc_lo, s1, v3, vcc_lo
	global_load_dwordx2 v[0:1], v[2:3], off
	v_add_co_u32 v16, vcc_lo, v12, s12
	v_add_co_ci_u32_e32 v17, vcc_lo, s1, v13, vcc_lo
	global_load_dwordx2 v[2:3], v[12:13], off
	;; [unrolled: 3-line block ×4, first 2 shown]
	s_clause 0x1
	global_load_dwordx2 v[64:65], v32, s[8:9] offset:1600
	global_load_dwordx2 v[66:67], v32, s[8:9] offset:1800
	global_load_dwordx2 v[18:19], v[21:22], off
	v_mul_hi_u32 v21, 0xcccccccd, v68
	v_and_b32_e32 v22, 0xff, v20
	s_load_dwordx4 s[0:3], s[2:3], 0x0
	v_mul_lo_u16 v22, 0xcd, v22
	v_lshrrev_b32_e32 v21, 2, v21
	v_lshl_add_u32 v23, v21, 2, v21
	v_add_co_u32 v21, null, v73, 25
	v_sub_nc_u32_e32 v24, v68, v23
	v_lshrrev_b16 v23, 11, v22
	v_and_b32_e32 v22, 0xff, v21
	v_mul_u32_u24_e32 v24, 0xfa, v24
	v_mul_lo_u16 v25, v23, 10
	v_mul_lo_u16 v26, 0xcd, v22
	v_lshlrev_b32_e32 v22, 3, v24
	v_sub_nc_u16 v28, v20, v25
	v_lshrrev_b16 v29, 11, v26
	v_add_nc_u32_e32 v74, v32, v22
	v_mad_u16 v23, v23, 50, v28
	v_and_b32_e32 v23, 0xff, v23
	s_waitcnt vmcnt(11)
	v_mul_f32_e32 v24, v9, v59
	v_mul_f32_e32 v25, v8, v59
	v_fmac_f32_e32 v24, v8, v58
	v_fma_f32 v25, v9, v58, -v25
	s_waitcnt vmcnt(10)
	v_mul_f32_e32 v26, v15, v55
	v_mul_f32_e32 v27, v14, v55
	s_waitcnt vmcnt(9)
	v_mul_f32_e32 v8, v5, v51
	v_mul_f32_e32 v9, v4, v51
	v_fmac_f32_e32 v26, v14, v54
	v_fma_f32 v27, v15, v54, -v27
	v_fmac_f32_e32 v8, v4, v50
	s_waitcnt vmcnt(7)
	v_mul_f32_e32 v14, v7, v63
	v_mul_f32_e32 v4, v11, v49
	;; [unrolled: 1-line block ×4, first 2 shown]
	v_fma_f32 v9, v5, v50, -v9
	v_fmac_f32_e32 v14, v6, v62
	v_fmac_f32_e32 v4, v10, v48
	v_fma_f32 v5, v11, v48, -v15
	v_fma_f32 v15, v7, v62, -v30
	s_waitcnt vmcnt(6)
	v_mul_f32_e32 v6, v1, v61
	v_mul_f32_e32 v7, v0, v61
	s_waitcnt vmcnt(5)
	v_mul_f32_e32 v10, v3, v57
	v_mul_f32_e32 v11, v2, v57
	v_fmac_f32_e32 v6, v0, v60
	v_fma_f32 v7, v1, v60, -v7
	s_waitcnt vmcnt(4)
	v_mul_f32_e32 v0, v13, v53
	v_fmac_f32_e32 v10, v2, v56
	v_fma_f32 v11, v3, v56, -v11
	v_mul_f32_e32 v1, v12, v53
	s_waitcnt vmcnt(2)
	v_mul_f32_e32 v2, v17, v65
	v_fmac_f32_e32 v0, v12, v52
	v_mul_f32_e32 v3, v16, v65
	s_waitcnt vmcnt(0)
	v_mul_f32_e32 v12, v19, v67
	v_mul_f32_e32 v30, v18, v67
	v_fmac_f32_e32 v2, v16, v64
	v_mul_lo_u16 v16, v20, 10
	v_fma_f32 v3, v17, v64, -v3
	v_fmac_f32_e32 v12, v18, v66
	v_lshlrev_b16 v17, 2, v28
	v_mul_lo_u16 v18, v29, 10
	v_fma_f32 v1, v13, v52, -v1
	v_fma_f32 v13, v19, v66, -v30
	v_mov_b32_e32 v19, 5
	v_and_b32_e32 v16, 0xffff, v16
	v_and_b32_e32 v17, 0xfc, v17
	v_sub_nc_u16 v20, v21, v18
	ds_write2_b64 v74, v[24:25], v[26:27] offset1:25
	ds_write2_b64 v74, v[8:9], v[4:5] offset0:50 offset1:75
	ds_write2_b64 v74, v[14:15], v[6:7] offset0:100 offset1:125
	;; [unrolled: 1-line block ×4, first 2 shown]
	s_waitcnt lgkmcnt(0)
	s_barrier
	buffer_gl0_inv
	ds_read2_b64 v[0:3], v74 offset1:25
	ds_read2_b64 v[4:7], v74 offset0:50 offset1:75
	ds_read2_b64 v[8:11], v74 offset0:100 offset1:125
	;; [unrolled: 1-line block ×3, first 2 shown]
	v_lshl_add_u32 v75, v16, 3, v22
	v_lshlrev_b32_e32 v24, 3, v17
	v_lshlrev_b32_sdwa v25, v19, v20 dst_sel:DWORD dst_unused:UNUSED_PAD src0_sel:DWORD src1_sel:BYTE_0
	ds_read2_b64 v[16:19], v74 offset0:200 offset1:225
	s_waitcnt lgkmcnt(0)
	s_barrier
	buffer_gl0_inv
	v_add_f32_e32 v26, v0, v4
	v_add_f32_e32 v34, v1, v5
	;; [unrolled: 1-line block ×3, first 2 shown]
	v_sub_f32_e32 v43, v10, v6
	v_add_f32_e32 v39, v2, v6
	v_add_f32_e32 v44, v3, v7
	;; [unrolled: 1-line block ×3, first 2 shown]
	v_sub_f32_e32 v82, v14, v18
	v_add_f32_e32 v45, v11, v15
	v_sub_f32_e32 v47, v7, v11
	v_sub_f32_e32 v69, v11, v7
	;; [unrolled: 1-line block ×3, first 2 shown]
	v_add_f32_e32 v7, v7, v19
	v_add_f32_e32 v27, v8, v12
	v_sub_f32_e32 v30, v9, v13
	v_sub_f32_e32 v31, v4, v8
	;; [unrolled: 1-line block ×3, first 2 shown]
	v_add_f32_e32 v35, v9, v13
	v_sub_f32_e32 v36, v8, v12
	v_sub_f32_e32 v37, v5, v9
	;; [unrolled: 1-line block ×4, first 2 shown]
	v_add_f32_e32 v5, v5, v17
	v_add_f32_e32 v8, v26, v8
	;; [unrolled: 1-line block ×4, first 2 shown]
	v_fma_f32 v43, -0.5, v76, v2
	v_fma_f32 v2, -0.5, v40, v2
	v_sub_f32_e32 v41, v11, v15
	v_sub_f32_e32 v42, v6, v10
	;; [unrolled: 1-line block ×3, first 2 shown]
	v_add_f32_e32 v10, v39, v10
	v_fma_f32 v34, -0.5, v45, v3
	v_fmac_f32_e32 v3, -0.5, v7
	v_sub_f32_e32 v6, v6, v18
	v_sub_f32_e32 v77, v16, v12
	;; [unrolled: 1-line block ×6, first 2 shown]
	v_fma_f32 v35, -0.5, v35, v1
	v_fma_f32 v45, -0.5, v5, v1
	v_add_f32_e32 v1, v9, v13
	v_fmamk_f32 v13, v72, 0x3f737871, v2
	v_add_f32_e32 v71, v4, v16
	v_sub_f32_e32 v83, v15, v19
	v_add_f32_e32 v11, v44, v11
	v_fma_f32 v27, -0.5, v27, v0
	v_add_f32_e32 v7, v10, v14
	v_fmamk_f32 v9, v41, 0xbf737871, v43
	v_fmac_f32_e32 v43, 0x3f737871, v41
	v_fmamk_f32 v10, v46, 0x3f737871, v3
	v_fmac_f32_e32 v3, 0xbf737871, v46
	v_sub_f32_e32 v84, v19, v15
	v_fmac_f32_e32 v2, 0xbf737871, v72
	v_fmamk_f32 v14, v6, 0xbf737871, v34
	v_fmac_f32_e32 v34, 0x3f737871, v6
	v_sub_f32_e32 v4, v4, v16
	v_add_f32_e32 v5, v31, v77
	v_add_f32_e32 v31, v33, v78
	;; [unrolled: 1-line block ×3, first 2 shown]
	v_fmac_f32_e32 v13, 0x3f167918, v41
	v_add_f32_e32 v39, v69, v83
	v_fma_f32 v44, -0.5, v71, v0
	v_add_f32_e32 v0, v8, v12
	v_add_f32_e32 v8, v11, v15
	v_fmamk_f32 v11, v70, 0x3f737871, v27
	v_fmac_f32_e32 v27, 0xbf737871, v70
	v_fmac_f32_e32 v43, 0xbf167918, v72
	;; [unrolled: 1-line block ×5, first 2 shown]
	v_add_f32_e32 v40, v47, v84
	v_fmac_f32_e32 v2, 0xbf167918, v41
	v_fmac_f32_e32 v34, 0x3f167918, v46
	v_fmamk_f32 v15, v4, 0xbf737871, v35
	v_fmamk_f32 v42, v36, 0x3f737871, v45
	v_fmac_f32_e32 v45, 0xbf737871, v36
	v_fmac_f32_e32 v14, 0xbf167918, v46
	;; [unrolled: 1-line block ×3, first 2 shown]
	v_fmamk_f32 v12, v30, 0xbf737871, v44
	v_fmac_f32_e32 v44, 0x3f737871, v30
	v_add_f32_e32 v16, v0, v16
	v_add_f32_e32 v17, v1, v17
	;; [unrolled: 1-line block ×4, first 2 shown]
	v_fmac_f32_e32 v11, 0x3f167918, v30
	v_fmac_f32_e32 v27, 0xbf167918, v30
	v_fmac_f32_e32 v43, 0x3e9e377a, v26
	v_fmac_f32_e32 v3, 0x3e9e377a, v39
	v_fmac_f32_e32 v10, 0x3e9e377a, v39
	v_fmac_f32_e32 v9, 0x3e9e377a, v26
	v_fmac_f32_e32 v35, 0x3f737871, v4
	v_fmac_f32_e32 v2, 0x3e9e377a, v33
	v_fmac_f32_e32 v34, 0x3e9e377a, v40
	v_add_f32_e32 v37, v37, v79
	v_fmac_f32_e32 v15, 0xbf167918, v36
	v_fmac_f32_e32 v42, 0xbf167918, v4
	;; [unrolled: 1-line block ×4, first 2 shown]
	v_mul_f32_e32 v4, 0x3f4f1bbd, v13
	v_mul_f32_e32 v13, 0xbf167918, v13
	v_add_f32_e32 v38, v38, v80
	v_fmac_f32_e32 v12, 0x3f167918, v70
	v_fmac_f32_e32 v44, 0xbf167918, v70
	v_add_f32_e32 v0, v16, v7
	v_add_f32_e32 v1, v17, v8
	v_sub_f32_e32 v6, v16, v7
	v_sub_f32_e32 v7, v17, v8
	v_fmac_f32_e32 v11, 0x3e9e377a, v5
	v_fmac_f32_e32 v27, 0x3e9e377a, v5
	v_mul_f32_e32 v5, 0xbe9e377a, v43
	v_mul_f32_e32 v17, 0xbe9e377a, v3
	;; [unrolled: 1-line block ×4, first 2 shown]
	v_fmac_f32_e32 v35, 0x3f167918, v36
	v_mul_f32_e32 v18, 0xbf4f1bbd, v2
	v_mul_f32_e32 v26, 0xbf4f1bbd, v34
	v_fmac_f32_e32 v15, 0x3e9e377a, v37
	v_fmac_f32_e32 v4, 0x3f167918, v14
	;; [unrolled: 1-line block ×14, first 2 shown]
	v_add_f32_e32 v2, v11, v4
	v_add_f32_e32 v3, v15, v13
	v_sub_f32_e32 v10, v12, v16
	v_add_f32_e32 v12, v12, v16
	v_add_f32_e32 v14, v44, v5
	v_sub_f32_e32 v9, v15, v13
	v_add_f32_e32 v13, v42, v19
	v_add_f32_e32 v15, v45, v17
	v_sub_f32_e32 v8, v11, v4
	v_add_f32_e32 v4, v27, v18
	v_sub_f32_e32 v16, v44, v5
	v_add_f32_e32 v5, v35, v26
	v_sub_f32_e32 v11, v42, v19
	v_sub_f32_e32 v18, v27, v18
	;; [unrolled: 1-line block ×4, first 2 shown]
	ds_write_b128 v75, v[0:3]
	ds_write_b128 v75, v[12:15] offset:16
	ds_write_b128 v75, v[4:7] offset:32
	;; [unrolled: 1-line block ×4, first 2 shown]
	s_waitcnt lgkmcnt(0)
	s_barrier
	buffer_gl0_inv
	s_clause 0x3
	global_load_dwordx4 v[8:11], v24, s[10:11]
	global_load_dwordx4 v[4:7], v25, s[10:11]
	global_load_dwordx4 v[0:3], v24, s[10:11] offset:16
	global_load_dwordx4 v[12:15], v25, s[10:11] offset:16
	v_mov_b32_e32 v30, 50
	ds_read2_b64 v[16:19], v74 offset0:50 offset1:75
	ds_read2_b64 v[24:27], v74 offset0:100 offset1:125
	v_lshlrev_b32_e32 v38, 5, v21
	v_lshl_add_u32 v77, v23, 3, v22
	v_lshlrev_b32_e32 v37, 5, v73
	v_mul_u32_u24_sdwa v33, v29, v30 dst_sel:DWORD dst_unused:UNUSED_PAD src0_sel:WORD_0 src1_sel:DWORD
	ds_read2_b64 v[28:31], v74 offset0:150 offset1:175
	v_add_nc_u32_sdwa v20, v33, v20 dst_sel:DWORD dst_unused:UNUSED_PAD src0_sel:DWORD src1_sel:BYTE_0
	ds_read2_b64 v[33:36], v74 offset0:200 offset1:225
	v_lshl_add_u32 v76, v20, 3, v22
	ds_read2_b64 v[20:23], v74 offset1:25
	s_waitcnt vmcnt(0) lgkmcnt(0)
	s_barrier
	buffer_gl0_inv
	v_mul_f32_e32 v39, v17, v9
	v_mul_f32_e32 v40, v16, v9
	;; [unrolled: 1-line block ×16, first 2 shown]
	v_fma_f32 v16, v16, v8, -v39
	v_fmac_f32_e32 v40, v17, v8
	v_fma_f32 v17, v18, v4, -v43
	v_fma_f32 v18, v24, v10, -v41
	v_fmac_f32_e32 v42, v25, v10
	v_fma_f32 v25, v28, v0, -v47
	v_fmac_f32_e32 v69, v29, v0
	;; [unrolled: 2-line block ×5, first 2 shown]
	v_fmac_f32_e32 v44, v19, v4
	v_fma_f32 v35, v35, v14, -v79
	v_fmac_f32_e32 v80, v36, v14
	v_sub_f32_e32 v19, v16, v18
	v_sub_f32_e32 v27, v33, v25
	v_add_f32_e32 v28, v18, v25
	v_add_f32_e32 v29, v42, v69
	v_add_f32_e32 v34, v20, v16
	v_sub_f32_e32 v30, v40, v42
	v_add_f32_e32 v36, v21, v40
	v_sub_f32_e32 v39, v40, v78
	v_add_f32_e32 v72, v16, v33
	v_sub_f32_e32 v79, v42, v40
	v_add_f32_e32 v40, v40, v78
	v_add_f32_e32 v82, v22, v17
	v_add_f32_e32 v84, v24, v26
	;; [unrolled: 1-line block ×3, first 2 shown]
	v_sub_f32_e32 v31, v78, v69
	v_add_f32_e32 v83, v23, v44
	v_add_f32_e32 v89, v17, v35
	;; [unrolled: 1-line block ×3, first 2 shown]
	v_sub_f32_e32 v41, v16, v33
	v_sub_f32_e32 v47, v18, v16
	;; [unrolled: 1-line block ×5, first 2 shown]
	v_add_f32_e32 v99, v19, v27
	v_fma_f32 v16, -0.5, v28, v20
	v_fma_f32 v17, -0.5, v29, v21
	v_add_f32_e32 v27, v34, v18
	v_sub_f32_e32 v43, v42, v69
	v_sub_f32_e32 v45, v18, v25
	v_add_f32_e32 v28, v36, v42
	v_fma_f32 v18, -0.5, v72, v20
	v_fma_f32 v19, -0.5, v40, v21
	v_add_f32_e32 v29, v82, v24
	v_sub_f32_e32 v91, v44, v46
	v_sub_f32_e32 v95, v46, v44
	;; [unrolled: 1-line block ×3, first 2 shown]
	v_fma_f32 v20, -0.5, v84, v22
	v_fma_f32 v21, -0.5, v90, v23
	v_sub_f32_e32 v94, v24, v26
	v_sub_f32_e32 v98, v46, v71
	v_add_f32_e32 v100, v30, v31
	v_fma_f32 v22, -0.5, v89, v22
	v_fmac_f32_e32 v23, -0.5, v93
	v_add_f32_e32 v30, v83, v46
	v_sub_f32_e32 v70, v25, v33
	v_add_f32_e32 v34, v27, v25
	v_fmamk_f32 v24, v39, 0x3f737871, v16
	v_fmamk_f32 v25, v41, 0xbf737871, v17
	v_sub_f32_e32 v81, v69, v78
	v_sub_f32_e32 v87, v35, v26
	;; [unrolled: 1-line block ×3, first 2 shown]
	v_add_f32_e32 v36, v28, v69
	v_add_f32_e32 v69, v29, v26
	v_fmamk_f32 v26, v43, 0xbf737871, v18
	v_fmac_f32_e32 v18, 0x3f737871, v43
	v_fmamk_f32 v27, v45, 0x3f737871, v19
	v_fmac_f32_e32 v19, 0xbf737871, v45
	v_fmac_f32_e32 v16, 0xbf737871, v39
	;; [unrolled: 1-line block ×3, first 2 shown]
	v_sub_f32_e32 v92, v80, v71
	v_fmamk_f32 v28, v44, 0x3f737871, v20
	v_fmamk_f32 v29, v97, 0xbf737871, v21
	v_sub_f32_e32 v96, v71, v80
	v_add_f32_e32 v71, v30, v71
	v_fmac_f32_e32 v20, 0xbf737871, v44
	v_fmamk_f32 v30, v98, 0xbf737871, v22
	v_fmac_f32_e32 v22, 0x3f737871, v98
	v_fmac_f32_e32 v21, 0x3f737871, v97
	v_fmamk_f32 v31, v94, 0x3f737871, v23
	v_fmac_f32_e32 v23, 0xbf737871, v94
	v_fmac_f32_e32 v24, 0x3f167918, v43
	;; [unrolled: 1-line block ×3, first 2 shown]
	v_add_f32_e32 v42, v47, v70
	v_add_f32_e32 v40, v79, v81
	v_fmac_f32_e32 v26, 0x3f167918, v39
	v_fmac_f32_e32 v18, 0xbf167918, v39
	;; [unrolled: 1-line block ×6, first 2 shown]
	v_add_f32_e32 v47, v85, v87
	v_add_f32_e32 v72, v91, v92
	v_fmac_f32_e32 v28, 0x3f167918, v98
	v_fmac_f32_e32 v29, 0xbf167918, v94
	v_add_f32_e32 v70, v86, v88
	v_add_f32_e32 v46, v95, v96
	v_fmac_f32_e32 v20, 0xbf167918, v98
	v_fmac_f32_e32 v30, 0x3f167918, v44
	;; [unrolled: 1-line block ×6, first 2 shown]
	v_add_f32_e32 v33, v34, v33
	v_add_f32_e32 v34, v36, v78
	v_fmac_f32_e32 v24, 0x3e9e377a, v99
	v_fmac_f32_e32 v25, 0x3e9e377a, v100
	;; [unrolled: 1-line block ×8, first 2 shown]
	v_add_f32_e32 v35, v69, v35
	v_add_f32_e32 v36, v71, v80
	v_fmac_f32_e32 v28, 0x3e9e377a, v47
	v_fmac_f32_e32 v29, 0x3e9e377a, v72
	;; [unrolled: 1-line block ×8, first 2 shown]
	ds_write2_b64 v77, v[33:34], v[24:25] offset1:10
	ds_write2_b64 v77, v[26:27], v[18:19] offset0:20 offset1:30
	ds_write_b64 v77, v[16:17] offset:320
	ds_write2_b64 v76, v[35:36], v[28:29] offset1:10
	ds_write2_b64 v76, v[30:31], v[22:23] offset0:20 offset1:30
	ds_write_b64 v76, v[20:21] offset:320
	s_waitcnt lgkmcnt(0)
	s_barrier
	buffer_gl0_inv
	s_clause 0x3
	global_load_dwordx4 v[20:23], v37, s[10:11] offset:320
	global_load_dwordx4 v[16:19], v38, s[10:11] offset:320
	;; [unrolled: 1-line block ×4, first 2 shown]
	ds_read2_b64 v[33:36], v74 offset0:50 offset1:75
	ds_read2_b64 v[37:40], v74 offset0:100 offset1:125
	;; [unrolled: 1-line block ×4, first 2 shown]
	ds_read2_b64 v[78:81], v74 offset1:25
	s_waitcnt vmcnt(3) lgkmcnt(4)
	v_mul_f32_e32 v45, v34, v21
	v_mul_f32_e32 v46, v33, v21
	s_waitcnt vmcnt(2)
	v_mul_f32_e32 v47, v36, v17
	v_mul_f32_e32 v82, v35, v17
	s_waitcnt lgkmcnt(3)
	v_mul_f32_e32 v83, v38, v23
	v_mul_f32_e32 v84, v37, v23
	;; [unrolled: 1-line block ×3, first 2 shown]
	s_waitcnt vmcnt(1) lgkmcnt(2)
	v_mul_f32_e32 v87, v42, v25
	v_mul_f32_e32 v88, v41, v25
	s_waitcnt lgkmcnt(1)
	v_mul_f32_e32 v91, v70, v27
	v_mul_f32_e32 v92, v69, v27
	;; [unrolled: 1-line block ×3, first 2 shown]
	s_waitcnt vmcnt(0)
	v_mul_f32_e32 v89, v44, v29
	v_mul_f32_e32 v90, v43, v29
	;; [unrolled: 1-line block ×4, first 2 shown]
	v_fma_f32 v33, v33, v20, -v45
	v_fmac_f32_e32 v46, v34, v20
	v_fma_f32 v34, v35, v16, -v47
	v_fmac_f32_e32 v82, v36, v16
	;; [unrolled: 2-line block ×3, first 2 shown]
	v_fma_f32 v36, v39, v18, -v85
	v_fma_f32 v39, v41, v24, -v87
	v_fmac_f32_e32 v88, v42, v24
	v_fma_f32 v47, v69, v26, -v91
	v_fmac_f32_e32 v92, v70, v26
	v_fmac_f32_e32 v86, v40, v18
	v_fma_f32 v40, v43, v28, -v89
	v_fmac_f32_e32 v90, v44, v28
	v_fma_f32 v71, v71, v30, -v93
	v_fmac_f32_e32 v94, v72, v30
	s_waitcnt lgkmcnt(0)
	v_add_f32_e32 v37, v78, v33
	v_sub_f32_e32 v41, v33, v35
	v_add_f32_e32 v42, v35, v39
	v_sub_f32_e32 v43, v35, v33
	v_sub_f32_e32 v85, v33, v47
	v_add_f32_e32 v44, v33, v47
	v_sub_f32_e32 v33, v47, v39
	v_add_f32_e32 v69, v84, v88
	v_add_f32_e32 v38, v79, v46
	v_sub_f32_e32 v70, v46, v84
	v_sub_f32_e32 v72, v84, v46
	;; [unrolled: 1-line block ×3, first 2 shown]
	v_add_f32_e32 v46, v46, v92
	v_add_f32_e32 v95, v80, v34
	;; [unrolled: 1-line block ×6, first 2 shown]
	v_sub_f32_e32 v98, v36, v34
	v_sub_f32_e32 v100, v34, v36
	;; [unrolled: 1-line block ×3, first 2 shown]
	v_add_f32_e32 v112, v41, v33
	v_fma_f32 v33, -0.5, v42, v78
	v_fma_f32 v34, -0.5, v69, v79
	v_sub_f32_e32 v83, v35, v39
	v_sub_f32_e32 v87, v84, v88
	;; [unrolled: 1-line block ×4, first 2 shown]
	v_add_f32_e32 v108, v37, v35
	v_add_f32_e32 v95, v95, v36
	v_fma_f32 v35, -0.5, v44, v78
	v_fma_f32 v36, -0.5, v46, v79
	v_sub_f32_e32 v45, v39, v47
	v_add_f32_e32 v96, v81, v82
	v_sub_f32_e32 v107, v86, v90
	v_add_f32_e32 v84, v38, v84
	v_fma_f32 v37, -0.5, v97, v80
	v_fma_f32 v80, -0.5, v101, v80
	;; [unrolled: 1-line block ×3, first 2 shown]
	v_fmac_f32_e32 v81, -0.5, v110
	v_sub_f32_e32 v91, v92, v88
	v_sub_f32_e32 v106, v86, v82
	v_sub_f32_e32 v109, v82, v86
	v_sub_f32_e32 v82, v82, v94
	v_fmamk_f32 v41, v89, 0x3f737871, v33
	v_fmamk_f32 v42, v85, 0xbf737871, v34
	v_sub_f32_e32 v103, v40, v71
	v_sub_f32_e32 v104, v71, v40
	v_add_f32_e32 v79, v72, v93
	v_add_f32_e32 v69, v108, v39
	;; [unrolled: 1-line block ×3, first 2 shown]
	v_fmamk_f32 v39, v87, 0xbf737871, v35
	v_fmamk_f32 v40, v83, 0x3f737871, v36
	v_fmac_f32_e32 v35, 0x3f737871, v87
	v_fmac_f32_e32 v36, 0xbf737871, v83
	v_fmac_f32_e32 v33, 0xbf737871, v89
	v_fmac_f32_e32 v34, 0x3f737871, v85
	v_sub_f32_e32 v111, v90, v94
	v_add_f32_e32 v86, v96, v86
	v_add_f32_e32 v78, v43, v45
	v_fmamk_f32 v43, v107, 0xbf737871, v80
	v_fmac_f32_e32 v80, 0x3f737871, v107
	v_fmamk_f32 v44, v99, 0x3f737871, v81
	v_fmac_f32_e32 v81, 0xbf737871, v99
	v_sub_f32_e32 v96, v94, v90
	v_add_f32_e32 v91, v70, v91
	v_fmamk_f32 v45, v82, 0x3f737871, v37
	v_fmac_f32_e32 v37, 0xbf737871, v82
	v_fmamk_f32 v46, v102, 0xbf737871, v38
	v_fmac_f32_e32 v38, 0x3f737871, v102
	v_fmac_f32_e32 v41, 0x3f167918, v87
	;; [unrolled: 1-line block ×9, first 2 shown]
	v_add_f32_e32 v93, v98, v103
	v_add_f32_e32 v97, v106, v111
	v_add_f32_e32 v70, v84, v88
	v_add_f32_e32 v84, v86, v90
	v_fmac_f32_e32 v80, 0xbf167918, v82
	v_fmac_f32_e32 v81, 0x3f167918, v102
	v_add_f32_e32 v98, v100, v104
	v_add_f32_e32 v96, v109, v96
	v_fmac_f32_e32 v43, 0x3f167918, v82
	v_fmac_f32_e32 v44, 0xbf167918, v102
	;; [unrolled: 1-line block ×14, first 2 shown]
	v_add_f32_e32 v69, v69, v47
	v_add_f32_e32 v70, v70, v92
	;; [unrolled: 1-line block ×4, first 2 shown]
	v_fmac_f32_e32 v80, 0x3e9e377a, v93
	v_fmac_f32_e32 v81, 0x3e9e377a, v97
	;; [unrolled: 1-line block ×8, first 2 shown]
	ds_write_b64 v74, v[41:42] offset:400
	ds_write_b64 v74, v[39:40] offset:800
	;; [unrolled: 1-line block ×4, first 2 shown]
	ds_write2_b64 v74, v[69:70], v[71:72] offset1:25
	ds_write_b64 v74, v[80:81] offset:1400
	ds_write_b64 v74, v[45:46] offset:600
	;; [unrolled: 1-line block ×4, first 2 shown]
	s_waitcnt lgkmcnt(0)
	s_barrier
	buffer_gl0_inv
	s_clause 0x9
	global_load_dwordx2 v[78:79], v32, s[8:9] offset:2000
	global_load_dwordx2 v[80:81], v32, s[6:7] offset:200
	;; [unrolled: 1-line block ×10, first 2 shown]
	ds_read2_b64 v[32:35], v74 offset1:25
	ds_read2_b64 v[36:39], v74 offset0:50 offset1:75
	ds_read2_b64 v[40:43], v74 offset0:100 offset1:125
	;; [unrolled: 1-line block ×4, first 2 shown]
	s_mul_hi_u32 s6, s0, 0xc8
	s_waitcnt vmcnt(9) lgkmcnt(4)
	v_mul_f32_e32 v99, v32, v79
	v_mul_f32_e32 v98, v33, v79
	s_waitcnt vmcnt(8)
	v_mul_f32_e32 v100, v35, v81
	v_mul_f32_e32 v79, v34, v81
	s_waitcnt vmcnt(7) lgkmcnt(3)
	v_mul_f32_e32 v81, v36, v83
	v_fmac_f32_e32 v99, v33, v78
	s_waitcnt vmcnt(6)
	v_mul_f32_e32 v33, v38, v85
	v_fma_f32 v98, v32, v78, -v98
	v_mul_f32_e32 v32, v39, v85
	v_mul_f32_e32 v101, v37, v83
	v_fma_f32 v78, v34, v80, -v100
	s_waitcnt vmcnt(5) lgkmcnt(2)
	v_mul_f32_e32 v34, v41, v87
	v_fmac_f32_e32 v79, v35, v80
	v_mul_f32_e32 v35, v40, v87
	s_waitcnt vmcnt(4)
	v_mul_f32_e32 v100, v43, v89
	v_mul_f32_e32 v83, v42, v89
	s_waitcnt vmcnt(3) lgkmcnt(1)
	v_mul_f32_e32 v89, v45, v91
	v_fmac_f32_e32 v81, v37, v82
	v_mul_f32_e32 v37, v44, v91
	s_waitcnt vmcnt(2)
	v_mul_f32_e32 v91, v47, v93
	v_fmac_f32_e32 v33, v39, v84
	v_mul_f32_e32 v39, v46, v93
	v_fma_f32 v32, v38, v84, -v32
	s_waitcnt vmcnt(1) lgkmcnt(0)
	v_mul_f32_e32 v84, v70, v95
	v_mul_f32_e32 v85, v69, v95
	s_waitcnt vmcnt(0)
	v_mul_f32_e32 v93, v72, v97
	v_mul_f32_e32 v87, v71, v97
	v_fma_f32 v80, v36, v82, -v101
	v_fma_f32 v34, v40, v86, -v34
	v_fmac_f32_e32 v35, v41, v86
	v_fma_f32 v82, v42, v88, -v100
	v_fmac_f32_e32 v83, v43, v88
	;; [unrolled: 2-line block ×6, first 2 shown]
	ds_write2_b64 v74, v[98:99], v[78:79] offset1:25
	ds_write2_b64 v74, v[80:81], v[32:33] offset0:50 offset1:75
	ds_write2_b64 v74, v[34:35], v[82:83] offset0:100 offset1:125
	;; [unrolled: 1-line block ×4, first 2 shown]
	s_waitcnt lgkmcnt(0)
	s_barrier
	buffer_gl0_inv
	ds_read2_b64 v[32:35], v74 offset1:25
	ds_read2_b64 v[36:39], v74 offset0:50 offset1:75
	ds_read2_b64 v[40:43], v74 offset0:100 offset1:125
	;; [unrolled: 1-line block ×4, first 2 shown]
	v_mad_u64_u32 v[69:70], null, s2, v68, 0
	s_waitcnt lgkmcnt(0)
	s_barrier
	buffer_gl0_inv
	v_mad_u64_u32 v[71:72], null, s0, v73, 0
	s_mulk_i32 s0, 0xc8
	v_add_f32_e32 v82, v32, v36
	v_add_f32_e32 v83, v33, v37
	;; [unrolled: 1-line block ×5, first 2 shown]
	v_sub_f32_e32 v98, v39, v43
	v_sub_f32_e32 v99, v43, v39
	;; [unrolled: 1-line block ×3, first 2 shown]
	v_add_f32_e32 v39, v39, v81
	v_add_f32_e32 v104, v43, v47
	;; [unrolled: 1-line block ×3, first 2 shown]
	v_sub_f32_e32 v87, v41, v45
	v_sub_f32_e32 v88, v36, v40
	;; [unrolled: 1-line block ×3, first 2 shown]
	v_add_f32_e32 v90, v41, v45
	v_sub_f32_e32 v91, v40, v44
	v_sub_f32_e32 v92, v37, v41
	;; [unrolled: 1-line block ×7, first 2 shown]
	v_add_f32_e32 v101, v36, v78
	v_add_f32_e32 v37, v37, v79
	;; [unrolled: 1-line block ×3, first 2 shown]
	v_sub_f32_e32 v38, v38, v80
	v_sub_f32_e32 v105, v42, v46
	;; [unrolled: 1-line block ×3, first 2 shown]
	v_add_f32_e32 v40, v82, v40
	v_add_f32_e32 v41, v83, v41
	;; [unrolled: 1-line block ×4, first 2 shown]
	v_sub_f32_e32 v83, v79, v45
	v_fma_f32 v104, -0.5, v104, v35
	v_fmac_f32_e32 v35, -0.5, v39
	v_sub_f32_e32 v39, v80, v46
	v_fma_f32 v94, -0.5, v94, v34
	v_add_f32_e32 v88, v88, v106
	v_sub_f32_e32 v106, v81, v47
	v_fma_f32 v86, -0.5, v86, v32
	v_fma_f32 v101, -0.5, v101, v32
	;; [unrolled: 1-line block ×3, first 2 shown]
	v_add_f32_e32 v37, v92, v83
	v_add_f32_e32 v83, v96, v39
	v_add_f32_e32 v32, v40, v44
	v_add_f32_e32 v39, v42, v46
	v_add_f32_e32 v40, v43, v47
	v_fmamk_f32 v42, v38, 0x3f737871, v104
	v_fmamk_f32 v43, v102, 0xbf737871, v94
	v_sub_f32_e32 v36, v36, v78
	v_sub_f32_e32 v84, v47, v81
	v_fma_f32 v90, -0.5, v90, v33
	v_fma_f32 v34, -0.5, v103, v34
	v_add_f32_e32 v33, v41, v45
	v_fmamk_f32 v41, v105, 0xbf737871, v35
	v_fmac_f32_e32 v35, 0x3f737871, v105
	v_fmac_f32_e32 v104, 0xbf737871, v38
	v_sub_f32_e32 v85, v45, v79
	v_add_f32_e32 v92, v98, v106
	v_fmac_f32_e32 v42, 0x3f167918, v105
	v_fmac_f32_e32 v43, 0xbf167918, v95
	v_sub_f32_e32 v82, v44, v78
	v_add_f32_e32 v84, v99, v84
	v_sub_f32_e32 v99, v46, v80
	v_fmamk_f32 v45, v36, 0x3f737871, v90
	v_fmamk_f32 v46, v95, 0x3f737871, v34
	v_fmac_f32_e32 v34, 0xbf737871, v95
	v_fmac_f32_e32 v90, 0xbf737871, v36
	;; [unrolled: 1-line block ×4, first 2 shown]
	v_fmamk_f32 v47, v87, 0x3f737871, v101
	v_fmac_f32_e32 v94, 0x3f737871, v102
	v_fmac_f32_e32 v101, 0xbf737871, v87
	;; [unrolled: 1-line block ×3, first 2 shown]
	v_add_f32_e32 v85, v93, v85
	v_fmamk_f32 v44, v100, 0xbf737871, v86
	v_fmamk_f32 v93, v91, 0xbf737871, v107
	v_fmac_f32_e32 v107, 0x3f737871, v91
	v_add_f32_e32 v78, v32, v78
	v_add_f32_e32 v39, v39, v80
	v_fmac_f32_e32 v42, 0x3e9e377a, v92
	v_fmac_f32_e32 v43, 0x3e9e377a, v83
	v_add_f32_e32 v82, v89, v82
	v_add_f32_e32 v89, v97, v99
	;; [unrolled: 1-line block ×4, first 2 shown]
	v_fmac_f32_e32 v45, 0x3f167918, v91
	v_fmac_f32_e32 v46, 0xbf167918, v102
	;; [unrolled: 1-line block ×14, first 2 shown]
	v_add_f32_e32 v32, v78, v39
	v_sub_f32_e32 v38, v78, v39
	v_mul_f32_e32 v36, 0xbf167918, v42
	v_mul_f32_e32 v78, 0x3f167918, v43
	v_add_f32_e32 v33, v79, v40
	v_sub_f32_e32 v39, v79, v40
	v_fmac_f32_e32 v45, 0x3e9e377a, v37
	v_fmac_f32_e32 v46, 0x3e9e377a, v89
	;; [unrolled: 1-line block ×4, first 2 shown]
	v_mul_f32_e32 v37, 0xbf737871, v35
	v_mul_f32_e32 v79, 0xbe9e377a, v35
	;; [unrolled: 1-line block ×4, first 2 shown]
	v_fmac_f32_e32 v86, 0x3f167918, v87
	v_fmac_f32_e32 v47, 0x3e9e377a, v82
	;; [unrolled: 1-line block ×4, first 2 shown]
	v_mul_f32_e32 v82, 0xbf167918, v104
	v_mul_f32_e32 v83, 0xbf4f1bbd, v104
	v_fmac_f32_e32 v44, 0x3e9e377a, v88
	v_fmac_f32_e32 v36, 0x3f4f1bbd, v43
	;; [unrolled: 1-line block ×12, first 2 shown]
	v_add_f32_e32 v34, v44, v36
	v_add_f32_e32 v35, v45, v78
	v_sub_f32_e32 v40, v44, v36
	v_sub_f32_e32 v41, v45, v78
	v_sub_f32_e32 v42, v47, v80
	v_add_f32_e32 v44, v47, v80
	v_add_f32_e32 v45, v93, v81
	;; [unrolled: 1-line block ×5, first 2 shown]
	v_sub_f32_e32 v78, v101, v37
	v_add_f32_e32 v37, v90, v83
	v_sub_f32_e32 v43, v93, v81
	v_sub_f32_e32 v80, v86, v82
	;; [unrolled: 1-line block ×4, first 2 shown]
	ds_write_b128 v75, v[32:35]
	ds_write_b128 v75, v[44:47] offset:16
	ds_write_b128 v75, v[36:39] offset:32
	;; [unrolled: 1-line block ×4, first 2 shown]
	v_mov_b32_e32 v40, v70
	s_waitcnt lgkmcnt(0)
	s_barrier
	buffer_gl0_inv
	ds_read2_b64 v[32:35], v74 offset0:50 offset1:75
	ds_read2_b64 v[36:39], v74 offset0:100 offset1:125
	v_mad_u64_u32 v[78:79], null, s3, v68, v[40:41]
	ds_read2_b64 v[40:43], v74 offset0:150 offset1:175
	ds_read2_b64 v[44:47], v74 offset0:200 offset1:225
	v_mov_b32_e32 v68, v72
	s_mov_b32 s2, 0xd2f1a9fc
	s_mov_b32 s3, 0x3f70624d
	v_mov_b32_e32 v70, v78
	ds_read2_b64 v[78:81], v74 offset1:25
	v_mad_u64_u32 v[72:73], null, s1, v73, v[68:69]
	s_waitcnt lgkmcnt(0)
	s_barrier
	buffer_gl0_inv
	s_mulk_i32 s1, 0xc8
	s_add_i32 s1, s6, s1
	v_mul_f32_e32 v68, v9, v33
	v_mul_f32_e32 v9, v9, v32
	;; [unrolled: 1-line block ×16, first 2 shown]
	v_fmac_f32_e32 v68, v8, v32
	v_fma_f32 v8, v8, v33, -v9
	v_fmac_f32_e32 v73, v10, v36
	v_fma_f32 v9, v10, v37, -v11
	;; [unrolled: 2-line block ×8, first 2 shown]
	v_sub_f32_e32 v0, v68, v73
	v_sub_f32_e32 v1, v84, v83
	v_add_f32_e32 v2, v73, v83
	v_add_f32_e32 v3, v9, v6
	v_sub_f32_e32 v7, v8, v9
	v_sub_f32_e32 v11, v32, v6
	v_add_f32_e32 v12, v78, v68
	v_add_f32_e32 v13, v79, v8
	v_sub_f32_e32 v34, v8, v32
	v_add_f32_e32 v38, v68, v84
	v_sub_f32_e32 v39, v9, v8
	v_add_f32_e32 v8, v8, v32
	v_add_f32_e32 v41, v80, v75
	;; [unrolled: 1-line block ×7, first 2 shown]
	v_sub_f32_e32 v35, v68, v84
	v_sub_f32_e32 v36, v9, v6
	;; [unrolled: 1-line block ×4, first 2 shown]
	v_add_f32_e32 v96, v0, v1
	v_fma_f32 v0, -0.5, v2, v78
	v_fma_f32 v1, -0.5, v3, v79
	v_add_f32_e32 v97, v7, v11
	v_add_f32_e32 v7, v12, v73
	;; [unrolled: 1-line block ×3, first 2 shown]
	v_sub_f32_e32 v37, v73, v83
	v_fma_f32 v2, -0.5, v38, v78
	v_fma_f32 v3, -0.5, v8, v79
	v_sub_f32_e32 v40, v6, v32
	v_sub_f32_e32 v44, v75, v82
	;; [unrolled: 1-line block ×9, first 2 shown]
	v_add_f32_e32 v11, v41, v82
	v_add_f32_e32 v12, v42, v5
	v_fma_f32 v4, -0.5, v43, v80
	v_fma_f32 v5, -0.5, v89, v81
	v_sub_f32_e32 v46, v82, v85
	v_fma_f32 v80, -0.5, v87, v80
	v_fmac_f32_e32 v81, -0.5, v92
	v_add_f32_e32 v73, v14, v15
	v_add_f32_e32 v14, v7, v83
	;; [unrolled: 1-line block ×3, first 2 shown]
	v_fmamk_f32 v6, v34, 0xbf737871, v0
	v_fmamk_f32 v7, v35, 0x3f737871, v1
	;; [unrolled: 1-line block ×3, first 2 shown]
	v_fmac_f32_e32 v2, 0xbf737871, v36
	v_fmamk_f32 v9, v37, 0xbf737871, v3
	v_fmac_f32_e32 v3, 0x3f737871, v37
	v_fmac_f32_e32 v0, 0x3f737871, v34
	v_fmac_f32_e32 v1, 0xbf737871, v35
	v_sub_f32_e32 v93, v33, v10
	v_sub_f32_e32 v94, v10, v33
	v_add_f32_e32 v38, v39, v40
	v_add_f32_e32 v39, v44, v47
	;; [unrolled: 1-line block ×4, first 2 shown]
	v_fmamk_f32 v10, v95, 0xbf737871, v4
	v_fmamk_f32 v11, v75, 0x3f737871, v5
	v_sub_f32_e32 v68, v85, v86
	v_fmamk_f32 v12, v88, 0x3f737871, v80
	v_fmac_f32_e32 v80, 0xbf737871, v88
	v_fmamk_f32 v13, v46, 0xbf737871, v81
	v_fmac_f32_e32 v81, 0x3f737871, v46
	v_fmac_f32_e32 v4, 0x3f737871, v95
	;; [unrolled: 1-line block ×11, first 2 shown]
	v_add_f32_e32 v41, v90, v93
	v_fmac_f32_e32 v10, 0xbf167918, v88
	v_fmac_f32_e32 v11, 0x3f167918, v46
	v_add_f32_e32 v40, v45, v68
	v_add_f32_e32 v42, v91, v94
	v_fmac_f32_e32 v12, 0xbf167918, v95
	v_fmac_f32_e32 v80, 0x3f167918, v95
	;; [unrolled: 1-line block ×4, first 2 shown]
	v_add_f32_e32 v14, v14, v84
	v_add_f32_e32 v15, v15, v32
	v_fmac_f32_e32 v4, 0x3f167918, v88
	v_fmac_f32_e32 v5, 0xbf167918, v46
	;; [unrolled: 1-line block ×10, first 2 shown]
	v_add_f32_e32 v32, v43, v86
	v_add_f32_e32 v33, v44, v33
	v_fmac_f32_e32 v10, 0x3e9e377a, v39
	v_fmac_f32_e32 v11, 0x3e9e377a, v41
	;; [unrolled: 1-line block ×8, first 2 shown]
	ds_write2_b64 v77, v[14:15], v[6:7] offset1:10
	ds_write2_b64 v77, v[8:9], v[2:3] offset0:20 offset1:30
	ds_write_b64 v77, v[0:1] offset:320
	ds_write2_b64 v76, v[32:33], v[10:11] offset1:10
	ds_write2_b64 v76, v[12:13], v[80:81] offset0:20 offset1:30
	ds_write_b64 v76, v[4:5] offset:320
	v_lshlrev_b64 v[32:33], 3, v[69:70]
	s_waitcnt lgkmcnt(0)
	s_barrier
	buffer_gl0_inv
	ds_read2_b64 v[0:3], v74 offset0:50 offset1:75
	ds_read2_b64 v[4:7], v74 offset0:100 offset1:125
	;; [unrolled: 1-line block ×4, first 2 shown]
	v_lshlrev_b64 v[34:35], 3, v[71:72]
	v_add_co_u32 v32, vcc_lo, s4, v32
	v_add_co_ci_u32_e32 v33, vcc_lo, s5, v33, vcc_lo
	v_add_co_u32 v36, vcc_lo, v32, v34
	v_add_co_ci_u32_e32 v37, vcc_lo, v33, v35, vcc_lo
	ds_read2_b64 v[32:35], v74 offset1:25
	s_waitcnt lgkmcnt(4)
	v_mul_f32_e32 v38, v21, v1
	v_mul_f32_e32 v21, v21, v0
	s_waitcnt lgkmcnt(3)
	v_mul_f32_e32 v39, v23, v5
	v_mul_f32_e32 v23, v23, v4
	;; [unrolled: 1-line block ×5, first 2 shown]
	s_waitcnt lgkmcnt(2)
	v_mul_f32_e32 v42, v25, v9
	v_mul_f32_e32 v25, v25, v8
	s_waitcnt lgkmcnt(1)
	v_mul_f32_e32 v43, v27, v13
	v_mul_f32_e32 v44, v29, v11
	;; [unrolled: 1-line block ×7, first 2 shown]
	v_fmac_f32_e32 v38, v20, v0
	v_fma_f32 v0, v20, v1, -v21
	v_fmac_f32_e32 v39, v22, v4
	v_fma_f32 v20, v22, v5, -v23
	v_fmac_f32_e32 v40, v16, v2
	v_fmac_f32_e32 v41, v18, v6
	v_fma_f32 v6, v18, v7, -v19
	v_fmac_f32_e32 v42, v24, v8
	v_fma_f32 v7, v24, v9, -v25
	v_fmac_f32_e32 v43, v26, v12
	v_fmac_f32_e32 v44, v28, v10
	v_fma_f32 v8, v28, v11, -v29
	v_fma_f32 v1, v16, v3, -v17
	;; [unrolled: 1-line block ×3, first 2 shown]
	v_fmac_f32_e32 v45, v30, v14
	v_fma_f32 v17, v30, v15, -v31
	v_add_f32_e32 v2, v39, v42
	v_sub_f32_e32 v3, v38, v39
	v_sub_f32_e32 v4, v43, v42
	v_add_f32_e32 v5, v38, v43
	v_sub_f32_e32 v9, v39, v38
	v_sub_f32_e32 v10, v42, v43
	v_add_f32_e32 v11, v20, v7
	s_waitcnt lgkmcnt(0)
	v_add_f32_e32 v19, v34, v40
	v_add_f32_e32 v21, v41, v44
	;; [unrolled: 1-line block ×4, first 2 shown]
	v_sub_f32_e32 v12, v0, v20
	v_sub_f32_e32 v13, v16, v7
	v_add_f32_e32 v14, v0, v16
	v_add_f32_e32 v24, v40, v45
	v_add_f32_e32 v30, v1, v17
	v_add_f32_e32 v31, v35, v1
	v_add_f32_e32 v68, v32, v38
	v_sub_f32_e32 v15, v20, v0
	v_sub_f32_e32 v18, v7, v16
	v_sub_f32_e32 v22, v40, v41
	v_sub_f32_e32 v25, v41, v40
	v_sub_f32_e32 v28, v1, v6
	v_sub_f32_e32 v46, v6, v1
	v_sub_f32_e32 v71, v0, v16
	v_sub_f32_e32 v38, v38, v43
	v_sub_f32_e32 v76, v1, v17
	v_sub_f32_e32 v40, v40, v45
	v_add_f32_e32 v77, v3, v4
	v_add_f32_e32 v78, v9, v10
	v_fma_f32 v0, -0.5, v2, v32
	v_fma_f32 v1, -0.5, v11, v33
	;; [unrolled: 1-line block ×5, first 2 shown]
	v_add_f32_e32 v10, v70, v20
	v_add_f32_e32 v11, v19, v41
	v_sub_f32_e32 v69, v39, v42
	v_sub_f32_e32 v72, v20, v7
	;; [unrolled: 1-line block ×4, first 2 shown]
	v_add_f32_e32 v79, v12, v13
	v_fma_f32 v3, -0.5, v14, v33
	v_fma_f32 v34, -0.5, v24, v34
	v_fmac_f32_e32 v35, -0.5, v30
	v_add_f32_e32 v9, v68, v39
	v_add_f32_e32 v12, v31, v6
	v_sub_f32_e32 v23, v45, v44
	v_sub_f32_e32 v29, v17, v8
	v_add_f32_e32 v18, v15, v18
	v_add_f32_e32 v15, v10, v7
	;; [unrolled: 1-line block ×3, first 2 shown]
	v_fmamk_f32 v6, v71, 0xbf737871, v0
	v_fmamk_f32 v7, v38, 0x3f737871, v1
	;; [unrolled: 1-line block ×4, first 2 shown]
	v_sub_f32_e32 v26, v44, v45
	v_sub_f32_e32 v47, v8, v17
	v_add_f32_e32 v14, v9, v42
	v_add_f32_e32 v24, v12, v8
	v_fmamk_f32 v8, v72, 0x3f737871, v2
	v_fmamk_f32 v9, v69, 0xbf737871, v3
	v_fmamk_f32 v12, v73, 0x3f737871, v34
	v_fmamk_f32 v13, v75, 0xbf737871, v35
	v_fmac_f32_e32 v2, 0xbf737871, v72
	v_fmac_f32_e32 v3, 0x3f737871, v69
	;; [unrolled: 1-line block ×8, first 2 shown]
	v_add_f32_e32 v22, v22, v23
	v_add_f32_e32 v23, v28, v29
	v_fmac_f32_e32 v6, 0xbf167918, v72
	v_fmac_f32_e32 v7, 0x3f167918, v69
	;; [unrolled: 1-line block ×4, first 2 shown]
	v_add_f32_e32 v21, v25, v26
	v_add_f32_e32 v19, v46, v47
	v_fmac_f32_e32 v8, 0xbf167918, v71
	v_fmac_f32_e32 v9, 0x3f167918, v38
	;; [unrolled: 1-line block ×12, first 2 shown]
	v_add_f32_e32 v14, v14, v43
	v_add_f32_e32 v15, v15, v16
	;; [unrolled: 1-line block ×4, first 2 shown]
	v_fmac_f32_e32 v6, 0x3e9e377a, v77
	v_fmac_f32_e32 v7, 0x3e9e377a, v79
	;; [unrolled: 1-line block ×16, first 2 shown]
	ds_write2_b64 v74, v[14:15], v[16:17] offset1:25
	ds_write2_b64 v74, v[6:7], v[10:11] offset0:50 offset1:75
	ds_write2_b64 v74, v[8:9], v[12:13] offset0:100 offset1:125
	;; [unrolled: 1-line block ×4, first 2 shown]
	s_waitcnt lgkmcnt(0)
	s_barrier
	buffer_gl0_inv
	ds_read2_b64 v[0:3], v74 offset1:25
	ds_read2_b64 v[4:7], v74 offset0:50 offset1:75
	ds_read2_b64 v[8:11], v74 offset0:100 offset1:125
	;; [unrolled: 1-line block ×4, first 2 shown]
	v_add_co_u32 v20, vcc_lo, v36, s0
	v_add_co_ci_u32_e32 v21, vcc_lo, s1, v37, vcc_lo
	v_add_co_u32 v22, vcc_lo, v20, s0
	v_add_co_ci_u32_e32 v23, vcc_lo, s1, v21, vcc_lo
	;; [unrolled: 2-line block ×3, first 2 shown]
	v_add_co_u32 v26, vcc_lo, v24, s0
	s_waitcnt lgkmcnt(4)
	v_mul_f32_e32 v28, v59, v1
	v_mul_f32_e32 v29, v59, v0
	v_mul_f32_e32 v30, v55, v3
	v_mul_f32_e32 v31, v55, v2
	s_waitcnt lgkmcnt(3)
	v_mul_f32_e32 v32, v51, v5
	v_mul_f32_e32 v33, v51, v4
	v_mul_f32_e32 v34, v49, v7
	v_mul_f32_e32 v35, v49, v6
	;; [unrolled: 5-line block ×3, first 2 shown]
	v_fmac_f32_e32 v28, v58, v0
	v_fma_f32 v29, v58, v1, -v29
	s_waitcnt lgkmcnt(1)
	v_mul_f32_e32 v42, v57, v13
	v_mul_f32_e32 v43, v57, v12
	v_fmac_f32_e32 v30, v54, v2
	v_fma_f32 v31, v54, v3, -v31
	v_mul_f32_e32 v44, v53, v15
	v_mul_f32_e32 v45, v53, v14
	v_fmac_f32_e32 v32, v50, v4
	v_fma_f32 v33, v50, v5, -v33
	s_waitcnt lgkmcnt(0)
	v_mul_f32_e32 v46, v65, v17
	v_mul_f32_e32 v47, v65, v16
	v_fmac_f32_e32 v34, v48, v6
	v_fma_f32 v35, v48, v7, -v35
	v_mul_f32_e32 v49, v67, v19
	v_mul_f32_e32 v51, v67, v18
	v_fmac_f32_e32 v38, v62, v8
	v_fma_f32 v39, v62, v9, -v39
	v_fmac_f32_e32 v40, v60, v10
	v_fma_f32 v41, v60, v11, -v41
	v_cvt_f64_f32_e32 v[0:1], v28
	v_cvt_f64_f32_e32 v[2:3], v29
	v_fmac_f32_e32 v42, v56, v12
	v_fma_f32 v43, v56, v13, -v43
	v_cvt_f64_f32_e32 v[4:5], v30
	v_cvt_f64_f32_e32 v[6:7], v31
	;; [unrolled: 4-line block ×5, first 2 shown]
	v_cvt_f64_f32_e32 v[28:29], v40
	v_cvt_f64_f32_e32 v[30:31], v41
	;; [unrolled: 1-line block ×10, first 2 shown]
	v_mul_f64 v[0:1], v[0:1], s[2:3]
	v_mul_f64 v[2:3], v[2:3], s[2:3]
	;; [unrolled: 1-line block ×8, first 2 shown]
	v_add_co_ci_u32_e32 v27, vcc_lo, s1, v25, vcc_lo
	v_mul_f64 v[16:17], v[16:17], s[2:3]
	v_mul_f64 v[18:19], v[18:19], s[2:3]
	;; [unrolled: 1-line block ×12, first 2 shown]
	v_add_co_u32 v50, vcc_lo, v26, s0
	v_cvt_f32_f64_e32 v0, v[0:1]
	v_cvt_f32_f64_e32 v1, v[2:3]
	v_cvt_f32_f64_e32 v2, v[4:5]
	v_cvt_f32_f64_e32 v3, v[6:7]
	v_add_co_ci_u32_e32 v51, vcc_lo, s1, v27, vcc_lo
	v_cvt_f32_f64_e32 v4, v[8:9]
	v_cvt_f32_f64_e32 v5, v[10:11]
	;; [unrolled: 1-line block ×6, first 2 shown]
	v_add_co_u32 v52, vcc_lo, v50, s0
	v_cvt_f32_f64_e32 v10, v[28:29]
	v_cvt_f32_f64_e32 v11, v[30:31]
	;; [unrolled: 1-line block ×4, first 2 shown]
	v_add_co_ci_u32_e32 v53, vcc_lo, s1, v51, vcc_lo
	v_cvt_f32_f64_e32 v14, v[38:39]
	v_cvt_f32_f64_e32 v15, v[40:41]
	;; [unrolled: 1-line block ×6, first 2 shown]
	v_add_co_u32 v28, vcc_lo, v52, s0
	v_add_co_ci_u32_e32 v29, vcc_lo, s1, v53, vcc_lo
	v_add_co_u32 v30, vcc_lo, v28, s0
	v_add_co_ci_u32_e32 v31, vcc_lo, s1, v29, vcc_lo
	;; [unrolled: 2-line block ×3, first 2 shown]
	global_store_dwordx2 v[36:37], v[0:1], off
	global_store_dwordx2 v[20:21], v[2:3], off
	;; [unrolled: 1-line block ×10, first 2 shown]
.LBB0_2:
	s_endpgm
	.section	.rodata,"a",@progbits
	.p2align	6, 0x0
	.amdhsa_kernel bluestein_single_fwd_len250_dim1_sp_op_CI_CI
		.amdhsa_group_segment_fixed_size 10000
		.amdhsa_private_segment_fixed_size 0
		.amdhsa_kernarg_size 104
		.amdhsa_user_sgpr_count 6
		.amdhsa_user_sgpr_private_segment_buffer 1
		.amdhsa_user_sgpr_dispatch_ptr 0
		.amdhsa_user_sgpr_queue_ptr 0
		.amdhsa_user_sgpr_kernarg_segment_ptr 1
		.amdhsa_user_sgpr_dispatch_id 0
		.amdhsa_user_sgpr_flat_scratch_init 0
		.amdhsa_user_sgpr_private_segment_size 0
		.amdhsa_wavefront_size32 1
		.amdhsa_uses_dynamic_stack 0
		.amdhsa_system_sgpr_private_segment_wavefront_offset 0
		.amdhsa_system_sgpr_workgroup_id_x 1
		.amdhsa_system_sgpr_workgroup_id_y 0
		.amdhsa_system_sgpr_workgroup_id_z 0
		.amdhsa_system_sgpr_workgroup_info 0
		.amdhsa_system_vgpr_workitem_id 0
		.amdhsa_next_free_vgpr 113
		.amdhsa_next_free_sgpr 20
		.amdhsa_reserve_vcc 1
		.amdhsa_reserve_flat_scratch 0
		.amdhsa_float_round_mode_32 0
		.amdhsa_float_round_mode_16_64 0
		.amdhsa_float_denorm_mode_32 3
		.amdhsa_float_denorm_mode_16_64 3
		.amdhsa_dx10_clamp 1
		.amdhsa_ieee_mode 1
		.amdhsa_fp16_overflow 0
		.amdhsa_workgroup_processor_mode 1
		.amdhsa_memory_ordered 1
		.amdhsa_forward_progress 0
		.amdhsa_shared_vgpr_count 0
		.amdhsa_exception_fp_ieee_invalid_op 0
		.amdhsa_exception_fp_denorm_src 0
		.amdhsa_exception_fp_ieee_div_zero 0
		.amdhsa_exception_fp_ieee_overflow 0
		.amdhsa_exception_fp_ieee_underflow 0
		.amdhsa_exception_fp_ieee_inexact 0
		.amdhsa_exception_int_div_zero 0
	.end_amdhsa_kernel
	.text
.Lfunc_end0:
	.size	bluestein_single_fwd_len250_dim1_sp_op_CI_CI, .Lfunc_end0-bluestein_single_fwd_len250_dim1_sp_op_CI_CI
                                        ; -- End function
	.section	.AMDGPU.csdata,"",@progbits
; Kernel info:
; codeLenInByte = 8268
; NumSgprs: 22
; NumVgprs: 113
; ScratchSize: 0
; MemoryBound: 0
; FloatMode: 240
; IeeeMode: 1
; LDSByteSize: 10000 bytes/workgroup (compile time only)
; SGPRBlocks: 2
; VGPRBlocks: 14
; NumSGPRsForWavesPerEU: 22
; NumVGPRsForWavesPerEU: 113
; Occupancy: 8
; WaveLimiterHint : 1
; COMPUTE_PGM_RSRC2:SCRATCH_EN: 0
; COMPUTE_PGM_RSRC2:USER_SGPR: 6
; COMPUTE_PGM_RSRC2:TRAP_HANDLER: 0
; COMPUTE_PGM_RSRC2:TGID_X_EN: 1
; COMPUTE_PGM_RSRC2:TGID_Y_EN: 0
; COMPUTE_PGM_RSRC2:TGID_Z_EN: 0
; COMPUTE_PGM_RSRC2:TIDIG_COMP_CNT: 0
	.text
	.p2alignl 6, 3214868480
	.fill 48, 4, 3214868480
	.type	__hip_cuid_27b862ed4a9fc945,@object ; @__hip_cuid_27b862ed4a9fc945
	.section	.bss,"aw",@nobits
	.globl	__hip_cuid_27b862ed4a9fc945
__hip_cuid_27b862ed4a9fc945:
	.byte	0                               ; 0x0
	.size	__hip_cuid_27b862ed4a9fc945, 1

	.ident	"AMD clang version 19.0.0git (https://github.com/RadeonOpenCompute/llvm-project roc-6.4.0 25133 c7fe45cf4b819c5991fe208aaa96edf142730f1d)"
	.section	".note.GNU-stack","",@progbits
	.addrsig
	.addrsig_sym __hip_cuid_27b862ed4a9fc945
	.amdgpu_metadata
---
amdhsa.kernels:
  - .args:
      - .actual_access:  read_only
        .address_space:  global
        .offset:         0
        .size:           8
        .value_kind:     global_buffer
      - .actual_access:  read_only
        .address_space:  global
        .offset:         8
        .size:           8
        .value_kind:     global_buffer
      - .actual_access:  read_only
        .address_space:  global
        .offset:         16
        .size:           8
        .value_kind:     global_buffer
      - .actual_access:  read_only
        .address_space:  global
        .offset:         24
        .size:           8
        .value_kind:     global_buffer
      - .actual_access:  read_only
        .address_space:  global
        .offset:         32
        .size:           8
        .value_kind:     global_buffer
      - .offset:         40
        .size:           8
        .value_kind:     by_value
      - .address_space:  global
        .offset:         48
        .size:           8
        .value_kind:     global_buffer
      - .address_space:  global
        .offset:         56
        .size:           8
        .value_kind:     global_buffer
      - .address_space:  global
        .offset:         64
        .size:           8
        .value_kind:     global_buffer
      - .address_space:  global
        .offset:         72
        .size:           8
        .value_kind:     global_buffer
      - .offset:         80
        .size:           4
        .value_kind:     by_value
      - .address_space:  global
        .offset:         88
        .size:           8
        .value_kind:     global_buffer
      - .address_space:  global
        .offset:         96
        .size:           8
        .value_kind:     global_buffer
    .group_segment_fixed_size: 10000
    .kernarg_segment_align: 8
    .kernarg_segment_size: 104
    .language:       OpenCL C
    .language_version:
      - 2
      - 0
    .max_flat_workgroup_size: 125
    .name:           bluestein_single_fwd_len250_dim1_sp_op_CI_CI
    .private_segment_fixed_size: 0
    .sgpr_count:     22
    .sgpr_spill_count: 0
    .symbol:         bluestein_single_fwd_len250_dim1_sp_op_CI_CI.kd
    .uniform_work_group_size: 1
    .uses_dynamic_stack: false
    .vgpr_count:     113
    .vgpr_spill_count: 0
    .wavefront_size: 32
    .workgroup_processor_mode: 1
amdhsa.target:   amdgcn-amd-amdhsa--gfx1030
amdhsa.version:
  - 1
  - 2
...

	.end_amdgpu_metadata
